;; amdgpu-corpus repo=ROCm/rocFFT kind=compiled arch=gfx1030 opt=O3
	.text
	.amdgcn_target "amdgcn-amd-amdhsa--gfx1030"
	.amdhsa_code_object_version 6
	.protected	fft_rtc_fwd_len243_factors_3_3_3_3_3_wgs_216_tpt_27_sp_op_CI_CI_sbrc_xy_z_aligned_dirReg ; -- Begin function fft_rtc_fwd_len243_factors_3_3_3_3_3_wgs_216_tpt_27_sp_op_CI_CI_sbrc_xy_z_aligned_dirReg
	.globl	fft_rtc_fwd_len243_factors_3_3_3_3_3_wgs_216_tpt_27_sp_op_CI_CI_sbrc_xy_z_aligned_dirReg
	.p2align	8
	.type	fft_rtc_fwd_len243_factors_3_3_3_3_3_wgs_216_tpt_27_sp_op_CI_CI_sbrc_xy_z_aligned_dirReg,@function
fft_rtc_fwd_len243_factors_3_3_3_3_3_wgs_216_tpt_27_sp_op_CI_CI_sbrc_xy_z_aligned_dirReg: ; @fft_rtc_fwd_len243_factors_3_3_3_3_3_wgs_216_tpt_27_sp_op_CI_CI_sbrc_xy_z_aligned_dirReg
; %bb.0:
	s_clause 0x2
	s_load_dwordx4 s[16:19], s[4:5], 0x10
	s_load_dwordx4 s[8:11], s[4:5], 0x58
	s_load_dwordx2 s[26:27], s[4:5], 0x20
	s_waitcnt lgkmcnt(0)
	s_load_dwordx4 s[20:23], s[16:17], 0x8
	s_clause 0x1
	s_load_dwordx4 s[12:15], s[18:19], 0x0
	s_load_dwordx2 s[24:25], s[18:19], 0x10
	s_waitcnt lgkmcnt(0)
	s_add_i32 s0, s22, -1
	s_load_dwordx2 s[22:23], s[4:5], 0x0
	s_lshr_b32 s0, s0, 3
	s_add_i32 s0, s0, 1
	s_mul_i32 s28, s0, s20
	v_cvt_f32_u32_e32 v1, s28
	s_sub_i32 s1, 0, s28
	v_rcp_iflag_f32_e32 v1, v1
	v_mul_f32_e32 v1, 0x4f7ffffe, v1
	v_cvt_u32_f32_e32 v1, v1
	v_readfirstlane_b32 s0, v1
	v_cvt_f32_u32_e32 v1, s20
	s_mul_i32 s1, s1, s0
	s_mul_hi_u32 s1, s0, s1
	s_add_i32 s0, s0, s1
	s_mul_hi_u32 s7, s6, s0
	s_mul_i32 s0, s7, s28
	s_add_i32 s25, s7, 1
	s_sub_i32 s15, s6, s0
	s_clause 0x1
	s_load_dwordx4 s[0:3], s[26:27], 0x0
	s_load_dwordx2 s[16:17], s[26:27], 0x10
	s_sub_i32 s29, s15, s28
	s_cmp_ge_u32 s15, s28
	s_waitcnt lgkmcnt(0)
	s_cselect_b32 s3, s25, s7
	s_cselect_b32 s7, s29, s15
	s_add_i32 s15, s3, 1
	s_cmp_ge_u32 s7, s28
	s_mov_b32 s7, 0
	s_cselect_b32 s3, s15, s3
	s_mov_b32 s31, s7
	s_mul_i32 s15, s3, s28
	s_mov_b64 s[28:29], 0
	s_sub_i32 s30, s6, s15
	v_cmp_lt_u64_e64 s15, s[30:31], s[20:21]
	s_and_b32 vcc_lo, exec_lo, s15
	s_cbranch_vccnz .LBB0_2
; %bb.1:
	v_rcp_iflag_f32_e32 v2, v1
	s_sub_i32 s17, 0, s20
	v_mul_f32_e32 v2, 0x4f7ffffe, v2
	v_cvt_u32_f32_e32 v2, v2
	v_readfirstlane_b32 s15, v2
	s_mul_i32 s17, s17, s15
	s_mul_hi_u32 s17, s15, s17
	s_add_i32 s15, s15, s17
	s_mul_hi_u32 s15, s30, s15
	s_mul_i32 s17, s15, s20
	s_add_i32 s25, s15, 1
	s_sub_i32 s17, s30, s17
	s_sub_i32 s28, s17, s20
	s_cmp_ge_u32 s17, s20
	s_cselect_b32 s15, s25, s15
	s_cselect_b32 s17, s28, s17
	s_add_i32 s25, s15, 1
	s_cmp_ge_u32 s17, s20
	s_cselect_b32 s28, s25, s15
.LBB0_2:
	v_cmp_lt_u64_e64 s7, s[6:7], s[20:21]
	s_and_b32 vcc_lo, exec_lo, s7
	s_cbranch_vccnz .LBB0_4
; %bb.3:
	v_rcp_iflag_f32_e32 v1, v1
	s_sub_i32 s15, 0, s20
	v_mul_f32_e32 v1, 0x4f7ffffe, v1
	v_cvt_u32_f32_e32 v1, v1
	v_readfirstlane_b32 s7, v1
	s_mul_i32 s15, s15, s7
	s_mul_hi_u32 s15, s7, s15
	s_add_i32 s7, s7, s15
	s_mul_hi_u32 s7, s6, s7
	s_mul_i32 s7, s7, s20
	s_sub_i32 s6, s6, s7
	s_sub_i32 s7, s6, s20
	s_cmp_ge_u32 s6, s20
	s_cselect_b32 s6, s7, s6
	s_sub_i32 s7, s6, s20
	s_cmp_ge_u32 s6, s20
	s_cselect_b32 s6, s7, s6
.LBB0_4:
	s_load_dwordx2 s[20:21], s[4:5], 0x8
	s_lshl_b32 s17, s28, 3
	s_mul_i32 s4, s6, s14
	s_mul_i32 s7, s17, s24
	v_add_nc_u16 v5, v0, 0xd8
	s_add_i32 s4, s4, s7
	v_mov_b32_e32 v3, 0x10e
	v_mul_u32_u24_e32 v1, 0x10e, v0
	v_mov_b32_e32 v22, 0x437
	v_add_nc_u16 v11, v0, 0x288
	v_add_nc_u16 v6, v0, 0x1b0
	v_mul_u32_u24_sdwa v3, v5, v3 dst_sel:DWORD dst_unused:UNUSED_PAD src0_sel:WORD_0 src1_sel:DWORD
	v_lshrrev_b32_e32 v28, 16, v1
	v_mov_b32_e32 v2, 0
	v_mul_u32_u24_sdwa v7, v11, v22 dst_sel:DWORD dst_unused:UNUSED_PAD src0_sel:WORD_0 src1_sel:DWORD
	v_mul_u32_u24_sdwa v4, v6, v22 dst_sel:DWORD dst_unused:UNUSED_PAD src0_sel:WORD_0 src1_sel:DWORD
	v_lshrrev_b32_e32 v29, 16, v3
	v_mul_lo_u16 v8, 0xf3, v28
	v_mul_lo_u32 v1, s24, v28
	v_lshrrev_b32_e32 v31, 18, v7
	s_waitcnt lgkmcnt(0)
	s_lshl_b64 s[14:15], s[20:21], 3
	v_mul_lo_u16 v7, 0xf3, v29
	s_add_u32 s18, s18, s14
	s_addc_u32 s19, s19, s15
	v_lshrrev_b32_e32 v30, 18, v4
	s_load_dwordx2 s[18:19], s[18:19], 0x0
	v_sub_nc_u16 v32, v0, v8
	v_sub_nc_u16 v33, v5, v7
	v_mul_lo_u16 v12, 0xf3, v31
	v_mul_lo_u16 v8, 0xf3, v30
	v_lshlrev_b64 v[3:4], 3, v[1:2]
	v_and_b32_e32 v13, 0xffff, v32
	v_and_b32_e32 v14, 0xffff, v33
	v_sub_nc_u16 v35, v11, v12
	v_sub_nc_u16 v34, v6, v8
	v_mul_lo_u32 v1, s24, v29
	v_mad_u64_u32 v[5:6], null, s12, v13, 0
	v_mad_u64_u32 v[7:8], null, s12, v14, 0
	v_and_b32_e32 v17, 0xffff, v34
	v_add_nc_u16 v16, v0, 0x360
	s_mov_b32 s5, 0
	v_and_b32_e32 v19, 0xffff, v35
	v_add_nc_u16 v23, v0, 0x510
	s_waitcnt lgkmcnt(0)
	s_mul_i32 s7, s19, s3
	s_mul_hi_u32 s19, s18, s3
	v_mad_u64_u32 v[11:12], null, s13, v13, v[6:7]
	s_add_i32 s19, s19, s7
	s_add_u32 s14, s26, s14
	s_addc_u32 s15, s27, s15
	v_mov_b32_e32 v6, v8
	s_load_dwordx2 s[14:15], s[14:15], 0x0
	v_mad_u64_u32 v[9:10], null, s12, v17, 0
	s_mul_i32 s18, s18, s3
	v_mad_u64_u32 v[14:15], null, s13, v14, v[6:7]
	v_mov_b32_e32 v6, v11
	s_lshl_b64 s[18:19], s[18:19], 3
	v_lshlrev_b64 v[12:13], 3, v[1:2]
	v_mov_b32_e32 v1, v10
	v_mul_u32_u24_sdwa v18, v16, v22 dst_sel:DWORD dst_unused:UNUSED_PAD src0_sel:WORD_0 src1_sel:DWORD
	v_lshlrev_b64 v[5:6], 3, v[5:6]
	v_mov_b32_e32 v8, v14
	v_mad_u64_u32 v[10:11], null, s13, v17, v[1:2]
	v_lshrrev_b32_e32 v36, 18, v18
	v_add_nc_u16 v17, v0, 0x438
	s_waitcnt lgkmcnt(0)
	s_mul_i32 s7, s15, s3
	s_mul_hi_u32 s15, s14, s3
	v_lshlrev_b64 v[9:10], 3, v[9:10]
	s_add_i32 s7, s15, s7
	s_add_u32 s15, s8, s18
	s_addc_u32 s18, s9, s19
	s_lshl_b64 s[8:9], s[4:5], 3
	v_mul_u32_u24_sdwa v18, v17, v22 dst_sel:DWORD dst_unused:UNUSED_PAD src0_sel:WORD_0 src1_sel:DWORD
	s_add_u32 s4, s15, s8
	s_addc_u32 s8, s18, s9
	v_add_co_u32 v1, vcc_lo, s4, v5
	v_add_co_ci_u32_e32 v11, vcc_lo, s8, v6, vcc_lo
	v_lshlrev_b64 v[5:6], 3, v[7:8]
	v_add_co_u32 v3, vcc_lo, v1, v3
	v_mad_u64_u32 v[7:8], null, s12, v19, 0
	v_add_co_ci_u32_e32 v4, vcc_lo, v11, v4, vcc_lo
	v_add_co_u32 v1, vcc_lo, s4, v5
	v_mul_lo_u16 v11, 0xf3, v36
	v_add_co_ci_u32_e32 v6, vcc_lo, s8, v6, vcc_lo
	v_add_co_u32 v5, vcc_lo, v1, v12
	v_sub_nc_u16 v37, v16, v11
	v_mad_u64_u32 v[11:12], null, s13, v19, v[8:9]
	v_mul_lo_u32 v1, s24, v30
	v_add_co_ci_u32_e32 v6, vcc_lo, v6, v13, vcc_lo
	v_and_b32_e32 v15, 0xffff, v37
	v_add_co_u32 v14, vcc_lo, s4, v9
	v_mov_b32_e32 v8, v11
	v_add_co_ci_u32_e32 v16, vcc_lo, s8, v10, vcc_lo
	v_lshlrev_b64 v[9:10], 3, v[1:2]
	v_mad_u64_u32 v[12:13], null, s12, v15, 0
	v_mul_lo_u32 v1, s24, v31
	v_lshlrev_b64 v[7:8], 3, v[7:8]
	v_lshrrev_b32_e32 v38, 18, v18
	v_add_co_u32 v9, vcc_lo, v14, v9
	v_add_co_ci_u32_e32 v10, vcc_lo, v16, v10, vcc_lo
	v_mov_b32_e32 v11, v13
	v_lshlrev_b64 v[13:14], 3, v[1:2]
	v_add_co_u32 v1, vcc_lo, s4, v7
	v_add_co_ci_u32_e32 v8, vcc_lo, s8, v8, vcc_lo
	v_mul_lo_u16 v18, 0xf3, v38
	v_add_co_u32 v7, vcc_lo, v1, v13
	v_add_co_ci_u32_e32 v8, vcc_lo, v8, v14, vcc_lo
	v_mad_u64_u32 v[15:16], null, s13, v15, v[11:12]
	v_sub_nc_u16 v39, v17, v18
	s_clause 0x3
	global_load_dwordx2 v[16:17], v[3:4], off
	global_load_dwordx2 v[18:19], v[5:6], off
	;; [unrolled: 1-line block ×4, first 2 shown]
	v_mul_u32_u24_sdwa v1, v23, v22 dst_sel:DWORD dst_unused:UNUSED_PAD src0_sel:WORD_0 src1_sel:DWORD
	v_add_nc_u16 v7, v0, 0x5e8
	v_and_b32_e32 v11, 0xffff, v39
	v_mov_b32_e32 v13, v15
	v_lshrrev_b32_e32 v40, 18, v1
	v_mul_lo_u32 v1, s24, v36
	v_mad_u64_u32 v[14:15], null, s12, v11, 0
	v_lshlrev_b64 v[3:4], 3, v[12:13]
	v_mul_u32_u24_sdwa v12, v7, v22 dst_sel:DWORD dst_unused:UNUSED_PAD src0_sel:WORD_0 src1_sel:DWORD
	v_add_nc_u16 v13, v0, 0x6c0
	v_mul_lo_u16 v8, 0xf3, v40
	v_mov_b32_e32 v5, v15
	v_lshrrev_b32_e32 v42, 18, v12
	v_sub_nc_u16 v41, v23, v8
	v_add_co_u32 v8, vcc_lo, s4, v3
	v_mad_u64_u32 v[5:6], null, s13, v11, v[5:6]
	v_mul_u32_u24_sdwa v6, v13, v22 dst_sel:DWORD dst_unused:UNUSED_PAD src0_sel:WORD_0 src1_sel:DWORD
	v_add_co_ci_u32_e32 v11, vcc_lo, s8, v4, vcc_lo
	v_lshlrev_b64 v[3:4], 3, v[1:2]
	v_mul_lo_u16 v1, 0xf3, v42
	v_lshrrev_b32_e32 v43, 18, v6
	v_and_b32_e32 v22, 0xffff, v41
	v_mov_b32_e32 v15, v5
	v_sub_nc_u16 v44, v7, v1
	v_mul_lo_u16 v1, 0xf3, v43
	v_mad_u64_u32 v[5:6], null, s12, v22, 0
	v_add_co_u32 v3, vcc_lo, v8, v3
	v_and_b32_e32 v24, 0xffff, v44
	v_sub_nc_u16 v45, v13, v1
	v_lshlrev_b64 v[7:8], 3, v[14:15]
	v_add_co_ci_u32_e32 v4, vcc_lo, v11, v4, vcc_lo
	v_mad_u64_u32 v[11:12], null, s12, v24, 0
	v_and_b32_e32 v26, 0xffff, v45
	v_mul_lo_u32 v1, s24, v38
	v_mad_u64_u32 v[13:14], null, s13, v22, v[6:7]
	v_add_co_u32 v25, vcc_lo, s4, v7
	v_mad_u64_u32 v[14:15], null, s12, v26, 0
	v_mov_b32_e32 v7, v12
	v_lshlrev_b64 v[22:23], 3, v[1:2]
	v_add_co_ci_u32_e32 v27, vcc_lo, s8, v8, vcc_lo
	v_mul_lo_u32 v1, s24, v40
	v_mad_u64_u32 v[7:8], null, s13, v24, v[7:8]
	v_mov_b32_e32 v8, v15
	v_mov_b32_e32 v6, v13
	v_add_co_u32 v22, vcc_lo, v25, v22
	v_add_co_ci_u32_e32 v23, vcc_lo, v27, v23, vcc_lo
	v_lshlrev_b64 v[5:6], 3, v[5:6]
	v_lshlrev_b64 v[24:25], 3, v[1:2]
	v_mul_lo_u32 v1, s24, v42
	v_mov_b32_e32 v12, v7
	v_add_co_u32 v7, vcc_lo, s4, v5
	s_waitcnt vmcnt(1)
	v_mad_u64_u32 v[26:27], null, s13, v26, v[8:9]
	v_add_co_ci_u32_e32 v8, vcc_lo, s8, v6, vcc_lo
	v_lshlrev_b64 v[5:6], 3, v[11:12]
	v_lshlrev_b64 v[11:12], 3, v[1:2]
	v_mul_lo_u32 v1, s24, v43
	v_add_co_u32 v7, vcc_lo, v7, v24
	v_mov_b32_e32 v15, v26
	v_add_co_ci_u32_e32 v8, vcc_lo, v8, v25, vcc_lo
	v_lshlrev_b64 v[13:14], 3, v[14:15]
	v_add_co_u32 v15, vcc_lo, s4, v5
	v_add_co_ci_u32_e32 v24, vcc_lo, s8, v6, vcc_lo
	v_lshlrev_b64 v[5:6], 3, v[1:2]
	v_add_co_u32 v13, vcc_lo, s4, v13
	v_add_co_ci_u32_e32 v14, vcc_lo, s8, v14, vcc_lo
	v_add_co_u32 v11, vcc_lo, v15, v11
	v_add_co_ci_u32_e32 v12, vcc_lo, v24, v12, vcc_lo
	;; [unrolled: 2-line block ×3, first 2 shown]
	s_clause 0x4
	global_load_dwordx2 v[13:14], v[3:4], off
	global_load_dwordx2 v[22:23], v[22:23], off
	global_load_dwordx2 v[24:25], v[7:8], off
	global_load_dwordx2 v[11:12], v[11:12], off
	global_load_dwordx2 v[26:27], v[5:6], off
	v_lshrrev_b32_e32 v1, 3, v0
	v_and_b32_e32 v4, 7, v0
	v_cmp_gt_u32_e32 vcc_lo, 0x288, v0
	s_mul_i32 s8, s2, 0x51
	s_mul_i32 s4, s6, s16
	v_add_nc_u32_e32 v6, 27, v1
	v_mul_lo_u16 v8, 0x56, v1
	v_lshlrev_b32_e32 v3, 6, v1
	v_lshlrev_b32_e32 v7, 3, v4
	v_add_nc_u32_e32 v5, 54, v1
	v_mul_lo_u16 v15, 0x56, v6
	v_lshrrev_b16 v46, 8, v8
	v_lshlrev_b16 v8, 3, v32
	v_add3_u32 v3, 0, v3, v7
	v_mul_lo_u16 v47, 0x56, v5
	v_lshrrev_b16 v49, 8, v15
	v_lshlrev_b16 v15, 3, v33
	v_or_b32_e32 v8, v8, v28
	v_lshlrev_b16 v28, 3, v34
	v_lshlrev_b16 v33, 3, v35
	v_lshlrev_b16 v34, 3, v37
	v_lshlrev_b16 v35, 3, v39
	v_lshlrev_b16 v37, 3, v41
	v_lshlrev_b16 v39, 3, v44
	v_lshlrev_b16 v41, 3, v45
	v_or_b32_e32 v15, v15, v29
	v_or_b32_e32 v28, v28, v30
	;; [unrolled: 1-line block ×3, first 2 shown]
	v_add_nc_u16 v30, v34, v36
	v_and_b32_e32 v8, 0xffff, v8
	v_or_b32_e32 v31, v35, v38
	v_add_nc_u16 v33, v37, v40
	v_add_nc_u16 v34, v39, v42
	;; [unrolled: 1-line block ×3, first 2 shown]
	v_and_b32_e32 v15, 0xffff, v15
	v_and_b32_e32 v28, 0xffff, v28
	v_and_b32_e32 v29, 0xffff, v29
	v_and_b32_e32 v30, 0xffff, v30
	v_mul_lo_u16 v51, v46, 3
	v_mul_lo_u16 v52, v49, 3
	v_lshl_add_u32 v8, v8, 3, 0
	v_and_b32_e32 v31, 0xffff, v31
	v_and_b32_e32 v33, 0xffff, v33
	;; [unrolled: 1-line block ×4, first 2 shown]
	v_lshl_add_u32 v15, v15, 3, 0
	v_lshl_add_u32 v28, v28, 3, 0
	v_add_nc_u32_e32 v48, 0xd00, v3
	v_lshl_add_u32 v29, v29, 3, 0
	v_add_nc_u32_e32 v32, 0x2800, v3
	v_add_nc_u32_e32 v50, 0x1a00, v3
	v_lshl_add_u32 v30, v30, 3, 0
	v_lshl_add_u32 v31, v31, 3, 0
	;; [unrolled: 1-line block ×5, first 2 shown]
	s_mul_i32 s6, s14, s3
	ds_write_b64 v8, v[16:17]
	ds_write_b64 v15, v[18:19]
	ds_write_b64 v28, v[9:10]
	s_waitcnt vmcnt(5)
	ds_write_b64 v29, v[20:21]
	s_waitcnt vmcnt(4)
	ds_write_b64 v30, v[13:14]
	;; [unrolled: 2-line block ×6, first 2 shown]
	v_sub_nc_u16 v24, v1, v51
	v_sub_nc_u16 v25, v6, v52
	s_waitcnt lgkmcnt(0)
	s_barrier
	buffer_gl0_inv
	ds_read2_b64 v[8:11], v3 offset1:216
	ds_read2_b64 v[12:15], v48 offset0:16 offset1:232
	ds_read2_b64 v[16:19], v32 offset0:16 offset1:232
	ds_read2_b64 v[20:23], v50 offset0:32 offset1:248
	v_and_b32_e32 v33, 0xff, v24
	v_and_b32_e32 v34, 0xff, v25
	ds_read_b64 v[24:25], v3 offset:13824
	v_lshrrev_b16 v27, 8, v47
	v_lshl_add_u32 v26, v1, 7, v3
	v_lshlrev_b32_e32 v31, 4, v33
	v_lshlrev_b32_e32 v32, 4, v34
	s_waitcnt lgkmcnt(0)
	v_mul_lo_u16 v29, v27, 3
	v_add_nc_u32_e32 v28, 0x1000, v26
	v_add_nc_u32_e32 v30, 0x2800, v26
	s_barrier
	buffer_gl0_inv
	v_sub_nc_u16 v29, v5, v29
	v_add_f32_e32 v35, v8, v14
	v_add_f32_e32 v36, v14, v16
	;; [unrolled: 1-line block ×4, first 2 shown]
	v_sub_f32_e32 v43, v21, v19
	v_add_f32_e32 v44, v11, v21
	v_add_f32_e32 v21, v21, v19
	v_sub_f32_e32 v48, v23, v25
	v_add_f32_e32 v50, v13, v23
	v_add_f32_e32 v23, v23, v25
	;; [unrolled: 1-line block ×4, first 2 shown]
	v_sub_f32_e32 v45, v20, v18
	v_add_f32_e32 v20, v12, v22
	v_add_f32_e32 v47, v22, v24
	v_sub_f32_e32 v37, v15, v17
	v_sub_f32_e32 v40, v14, v16
	v_fma_f32 v8, -0.5, v36, v8
	v_fma_f32 v9, -0.5, v39, v9
	;; [unrolled: 1-line block ×3, first 2 shown]
	v_fmac_f32_e32 v11, -0.5, v21
	v_sub_f32_e32 v51, v22, v24
	v_fmac_f32_e32 v13, -0.5, v23
	v_add_f32_e32 v14, v35, v16
	v_add_f32_e32 v15, v38, v17
	;; [unrolled: 1-line block ×5, first 2 shown]
	v_fma_f32 v12, -0.5, v47, v12
	v_add_f32_e32 v19, v50, v25
	v_fmamk_f32 v20, v37, 0x3f5db3d7, v8
	v_fmamk_f32 v21, v40, 0xbf5db3d7, v9
	v_fmac_f32_e32 v8, 0xbf5db3d7, v37
	v_fmac_f32_e32 v9, 0x3f5db3d7, v40
	v_fmamk_f32 v22, v43, 0x3f5db3d7, v10
	v_fmamk_f32 v23, v45, 0xbf5db3d7, v11
	v_fmac_f32_e32 v10, 0xbf5db3d7, v43
	v_fmac_f32_e32 v11, 0x3f5db3d7, v45
	v_fmamk_f32 v25, v51, 0xbf5db3d7, v13
	v_fmac_f32_e32 v13, 0x3f5db3d7, v51
	v_fmamk_f32 v24, v48, 0x3f5db3d7, v12
	v_fmac_f32_e32 v12, 0xbf5db3d7, v48
	ds_write_b64 v26, v[18:19] offset:10368
	ds_write2_b64 v26, v[14:15], v[20:21] offset1:8
	ds_write_b64 v26, v[8:9] offset:128
	ds_write2_b64 v28, v[16:17], v[22:23] offset0:136 offset1:144
	ds_write_b64 v26, v[10:11] offset:5312
	ds_write2_b32 v30, v24, v25 offset0:48 offset1:49
	ds_write2_b32 v30, v12, v13 offset0:64 offset1:65
	s_waitcnt lgkmcnt(0)
	s_barrier
	buffer_gl0_inv
	global_load_dwordx4 v[13:16], v31, s[22:23]
	v_and_b32_e32 v35, 0xff, v29
	global_load_dwordx4 v[17:20], v32, s[22:23]
	v_mul_lo_u16 v28, v6, 57
	v_mov_b32_e32 v10, 9
	v_mul_lo_u16 v29, v5, 57
	v_lshlrev_b32_e32 v8, 4, v35
	v_lshlrev_b32_e32 v11, 7, v6
	v_lshrrev_b16 v44, 9, v28
	v_lshlrev_b32_e32 v25, 7, v5
	v_add_nc_u32_e32 v12, 0x1400, v3
	global_load_dwordx4 v[21:24], v8, s[22:23]
	v_mul_lo_u16 v8, v1, 29
	v_lshrrev_b16 v45, 9, v29
	v_add_nc_u32_e32 v28, 0x1440, v26
	v_add_nc_u32_e32 v26, 0x2880, v26
	v_mul_u32_u24_sdwa v38, v27, v10 dst_sel:DWORD dst_unused:UNUSED_PAD src0_sel:WORD_0 src1_sel:DWORD
	v_lshrrev_b16 v43, 8, v8
	v_add_nc_u32_e32 v8, 0x2100, v3
	v_mul_lo_u16 v29, v44, 9
	v_mul_u32_u24_sdwa v36, v46, v10 dst_sel:DWORD dst_unused:UNUSED_PAD src0_sel:WORD_0 src1_sel:DWORD
	v_mul_u32_u24_sdwa v37, v49, v10 dst_sel:DWORD dst_unused:UNUSED_PAD src0_sel:WORD_0 src1_sel:DWORD
	v_mul_lo_u16 v30, v43, 9
	v_sub_nc_u32_e32 v10, v28, v11
	v_sub_nc_u32_e32 v11, v26, v25
	v_sub_nc_u16 v40, v6, v29
	v_add_nc_u32_e32 v9, 0x2f00, v3
	v_sub_nc_u16 v27, v1, v30
	ds_read2_b64 v[29:32], v8 offset0:24 offset1:240
	v_add_lshl_u32 v33, v36, v33, 6
	v_add_lshl_u32 v37, v37, v34, 6
	;; [unrolled: 1-line block ×3, first 2 shown]
	v_and_b32_e32 v46, 0xff, v27
	ds_read2_b64 v[25:28], v12 offset0:8 offset1:224
	v_add3_u32 v50, 0, v33, v7
	ds_read2_b64 v[33:36], v9 offset0:8 offset1:224
	v_mul_lo_u16 v39, v45, 9
	v_and_b32_e32 v49, 0xff, v40
	v_add3_u32 v52, 0, v37, v7
	v_add3_u32 v53, 0, v38, v7
	v_lshlrev_b32_e32 v48, 4, v46
	v_sub_nc_u16 v47, v5, v39
	ds_read_b64 v[37:38], v3
	ds_read_b64 v[39:40], v10
	ds_read2_b32 v[41:42], v11 offset1:1
	v_lshlrev_b32_e32 v51, 4, v49
	s_waitcnt vmcnt(0) lgkmcnt(0)
	s_barrier
	buffer_gl0_inv
	v_mul_f32_e32 v54, v14, v26
	v_mul_f32_e32 v14, v14, v25
	v_mul_f32_e32 v55, v16, v32
	v_mul_f32_e32 v16, v16, v31
	v_mul_f32_e32 v56, v18, v28
	v_fma_f32 v25, v13, v25, -v54
	v_fmac_f32_e32 v14, v13, v26
	v_fma_f32 v13, v15, v31, -v55
	v_fmac_f32_e32 v16, v15, v32
	v_mul_f32_e32 v15, v18, v27
	v_mul_f32_e32 v18, v20, v34
	;; [unrolled: 1-line block ×4, first 2 shown]
	v_fma_f32 v27, v17, v27, -v56
	v_fmac_f32_e32 v15, v17, v28
	v_mul_f32_e32 v17, v22, v29
	v_mul_f32_e32 v22, v36, v24
	;; [unrolled: 1-line block ×3, first 2 shown]
	v_fma_f32 v18, v19, v33, -v18
	v_fmac_f32_e32 v20, v19, v34
	v_fma_f32 v19, v21, v29, -v26
	v_fmac_f32_e32 v17, v21, v30
	;; [unrolled: 2-line block ×3, first 2 shown]
	v_add_f32_e32 v23, v25, v13
	v_add_f32_e32 v29, v14, v16
	;; [unrolled: 1-line block ×7, first 2 shown]
	v_sub_f32_e32 v26, v14, v16
	v_add_f32_e32 v28, v38, v14
	v_sub_f32_e32 v25, v25, v13
	v_add_f32_e32 v33, v40, v15
	v_fma_f32 v37, -0.5, v23, v37
	v_fmac_f32_e32 v38, -0.5, v29
	v_add_f32_e32 v30, v39, v27
	v_sub_f32_e32 v32, v15, v20
	v_sub_f32_e32 v27, v27, v18
	v_add_f32_e32 v35, v41, v19
	v_fma_f32 v39, -0.5, v31, v39
	v_fmac_f32_e32 v40, -0.5, v34
	v_sub_f32_e32 v54, v17, v24
	v_add_f32_e32 v55, v42, v17
	v_sub_f32_e32 v57, v19, v21
	v_fma_f32 v41, -0.5, v36, v41
	v_fmac_f32_e32 v42, -0.5, v56
	v_add_f32_e32 v13, v22, v13
	v_add_f32_e32 v14, v28, v16
	;; [unrolled: 1-line block ×3, first 2 shown]
	v_fmamk_f32 v19, v26, 0x3f5db3d7, v37
	v_fmamk_f32 v20, v25, 0xbf5db3d7, v38
	v_fmac_f32_e32 v37, 0xbf5db3d7, v26
	v_fmac_f32_e32 v38, 0x3f5db3d7, v25
	v_add_f32_e32 v15, v30, v18
	v_add_f32_e32 v17, v35, v21
	v_fmamk_f32 v21, v32, 0x3f5db3d7, v39
	v_fmamk_f32 v22, v27, 0xbf5db3d7, v40
	v_fmac_f32_e32 v39, 0xbf5db3d7, v32
	v_fmac_f32_e32 v40, 0x3f5db3d7, v27
	v_add_f32_e32 v18, v55, v24
	v_fmamk_f32 v23, v54, 0x3f5db3d7, v41
	v_fmamk_f32 v24, v57, 0xbf5db3d7, v42
	v_fmac_f32_e32 v41, 0xbf5db3d7, v54
	v_fmac_f32_e32 v42, 0x3f5db3d7, v57
	ds_write2_b64 v50, v[13:14], v[19:20] offset1:24
	ds_write_b64 v50, v[37:38] offset:384
	ds_write2_b64 v52, v[15:16], v[21:22] offset1:24
	ds_write_b64 v52, v[39:40] offset:384
	;; [unrolled: 2-line block ×3, first 2 shown]
	s_waitcnt lgkmcnt(0)
	s_barrier
	buffer_gl0_inv
	global_load_dwordx4 v[13:16], v48, s[22:23] offset:48
	v_and_b32_e32 v33, 0xff, v47
	global_load_dwordx4 v[17:20], v51, s[22:23] offset:48
	v_mul_lo_u16 v25, v1, 19
	v_mov_b32_e32 v26, 27
	v_mul_lo_u16 v27, v5, 19
	v_lshlrev_b32_e32 v21, 4, v33
	v_lshrrev_b16 v47, 9, v25
	v_mul_lo_u16 v25, v6, 19
	v_mul_u32_u24_sdwa v34, v43, v26 dst_sel:DWORD dst_unused:UNUSED_PAD src0_sel:WORD_0 src1_sel:DWORD
	global_load_dwordx4 v[21:24], v21, s[22:23] offset:48
	v_lshrrev_b16 v43, 9, v27
	v_mul_lo_u16 v28, v47, 27
	v_lshrrev_b16 v48, 9, v25
	v_mul_u32_u24_sdwa v35, v44, v26 dst_sel:DWORD dst_unused:UNUSED_PAD src0_sel:WORD_0 src1_sel:DWORD
	v_mul_u32_u24_sdwa v36, v45, v26 dst_sel:DWORD dst_unused:UNUSED_PAD src0_sel:WORD_0 src1_sel:DWORD
	v_mul_lo_u16 v37, v43, 27
	v_sub_nc_u16 v25, v1, v28
	v_mul_lo_u16 v29, v48, 27
	v_add_lshl_u32 v34, v34, v46, 6
	v_sub_nc_u16 v45, v5, v37
	v_and_b32_e32 v44, 0xff, v25
	ds_read2_b64 v[25:28], v12 offset0:8 offset1:224
	v_sub_nc_u16 v38, v6, v29
	ds_read2_b64 v[29:32], v8 offset0:24 offset1:240
	v_add_lshl_u32 v37, v35, v49, 6
	v_add3_u32 v49, 0, v34, v7
	v_lshlrev_b32_e32 v46, 4, v44
	v_and_b32_e32 v50, 0xff, v38
	v_add_lshl_u32 v38, v36, v33, 6
	ds_read2_b64 v[33:36], v9 offset0:8 offset1:224
	v_add3_u32 v52, 0, v37, v7
	v_lshlrev_b32_e32 v51, 4, v50
	v_add3_u32 v53, 0, v38, v7
	ds_read_b64 v[37:38], v3
	ds_read_b64 v[39:40], v10
	ds_read2_b32 v[41:42], v11 offset1:1
	s_waitcnt vmcnt(0) lgkmcnt(0)
	s_barrier
	buffer_gl0_inv
	v_mul_f32_e32 v54, v14, v26
	v_mul_f32_e32 v14, v14, v25
	;; [unrolled: 1-line block ×5, first 2 shown]
	v_fma_f32 v25, v13, v25, -v54
	v_fmac_f32_e32 v14, v13, v26
	v_fma_f32 v13, v15, v31, -v55
	v_fmac_f32_e32 v16, v15, v32
	v_mul_f32_e32 v15, v18, v27
	v_mul_f32_e32 v18, v20, v34
	;; [unrolled: 1-line block ×4, first 2 shown]
	v_fma_f32 v27, v17, v27, -v56
	v_fmac_f32_e32 v15, v17, v28
	v_mul_f32_e32 v17, v22, v29
	v_mul_f32_e32 v22, v36, v24
	;; [unrolled: 1-line block ×3, first 2 shown]
	v_fma_f32 v18, v19, v33, -v18
	v_fmac_f32_e32 v20, v19, v34
	v_fma_f32 v19, v21, v29, -v26
	v_fmac_f32_e32 v17, v21, v30
	v_fma_f32 v21, v35, v23, -v22
	v_fmac_f32_e32 v24, v36, v23
	v_add_f32_e32 v23, v25, v13
	v_add_f32_e32 v29, v14, v16
	;; [unrolled: 1-line block ×7, first 2 shown]
	v_sub_f32_e32 v26, v14, v16
	v_add_f32_e32 v28, v38, v14
	v_sub_f32_e32 v25, v25, v13
	v_add_f32_e32 v33, v40, v15
	v_fma_f32 v37, -0.5, v23, v37
	v_fmac_f32_e32 v38, -0.5, v29
	v_add_f32_e32 v30, v39, v27
	v_sub_f32_e32 v32, v15, v20
	v_sub_f32_e32 v27, v27, v18
	v_add_f32_e32 v35, v41, v19
	v_fma_f32 v39, -0.5, v31, v39
	v_fmac_f32_e32 v40, -0.5, v34
	v_sub_f32_e32 v54, v17, v24
	v_add_f32_e32 v55, v42, v17
	v_sub_f32_e32 v57, v19, v21
	v_fma_f32 v41, -0.5, v36, v41
	v_fmac_f32_e32 v42, -0.5, v56
	v_add_f32_e32 v13, v22, v13
	v_add_f32_e32 v14, v28, v16
	;; [unrolled: 1-line block ×3, first 2 shown]
	v_fmamk_f32 v19, v26, 0x3f5db3d7, v37
	v_fmamk_f32 v20, v25, 0xbf5db3d7, v38
	v_fmac_f32_e32 v38, 0x3f5db3d7, v25
	v_and_b32_e32 v25, 0xff, v45
	v_fmac_f32_e32 v37, 0xbf5db3d7, v26
	v_add_f32_e32 v15, v30, v18
	v_add_f32_e32 v17, v35, v21
	v_fmamk_f32 v21, v32, 0x3f5db3d7, v39
	v_fmamk_f32 v22, v27, 0xbf5db3d7, v40
	v_fmac_f32_e32 v39, 0xbf5db3d7, v32
	v_fmac_f32_e32 v40, 0x3f5db3d7, v27
	v_add_f32_e32 v18, v55, v24
	v_fmamk_f32 v23, v54, 0x3f5db3d7, v41
	v_fmamk_f32 v24, v57, 0xbf5db3d7, v42
	v_fmac_f32_e32 v41, 0xbf5db3d7, v54
	v_fmac_f32_e32 v42, 0x3f5db3d7, v57
	ds_write2_b64 v49, v[13:14], v[19:20] offset1:72
	ds_write_b64 v49, v[37:38] offset:1152
	ds_write2_b64 v52, v[15:16], v[21:22] offset1:72
	ds_write_b64 v52, v[39:40] offset:1152
	;; [unrolled: 2-line block ×3, first 2 shown]
	s_waitcnt lgkmcnt(0)
	s_barrier
	buffer_gl0_inv
	global_load_dwordx4 v[13:16], v46, s[22:23] offset:192
	v_lshlrev_b32_e32 v21, 4, v25
	global_load_dwordx4 v[17:20], v51, s[22:23] offset:192
	v_mul_lo_u16 v26, v5, 51
	v_add_nc_u32_e32 v27, 0xffffffaf, v1
	v_subrev_nc_u32_e32 v29, 54, v1
	global_load_dwordx4 v[21:24], v21, s[22:23] offset:192
	v_lshrrev_b16 v49, 12, v26
	v_mov_b32_e32 v26, 0x51
	v_mul_lo_u16 v28, 0x51, v49
	v_mul_u32_u24_sdwa v30, v47, v26 dst_sel:DWORD dst_unused:UNUSED_PAD src0_sel:WORD_0 src1_sel:DWORD
	v_cndmask_b32_e32 v47, v27, v1, vcc_lo
	v_cmp_gt_u32_e32 vcc_lo, 0x1b0, v0
	v_sub_nc_u16 v1, v5, v28
	v_add_lshl_u32 v28, v30, v44, 6
	v_cndmask_b32_e32 v27, v29, v6, vcc_lo
	v_mul_u32_u24_sdwa v29, v48, v26 dst_sel:DWORD dst_unused:UNUSED_PAD src0_sel:WORD_0 src1_sel:DWORD
	v_mul_u32_u24_sdwa v26, v43, v26 dst_sel:DWORD dst_unused:UNUSED_PAD src0_sel:WORD_0 src1_sel:DWORD
	v_lshlrev_b16 v30, 1, v1
	v_lshlrev_b32_e32 v1, 1, v47
	v_add3_u32 v48, 0, v28, v7
	v_add_lshl_u32 v29, v29, v50, 6
	v_add_lshl_u32 v33, v26, v25, 6
	v_and_b32_e32 v50, 0xfe, v30
	v_lshlrev_b64 v[37:38], 3, v[1:2]
	v_lshlrev_b32_e32 v1, 1, v27
	ds_read2_b64 v[25:28], v12 offset0:8 offset1:224
	v_add3_u32 v51, 0, v29, v7
	ds_read2_b64 v[29:32], v8 offset0:24 offset1:240
	v_add3_u32 v7, 0, v33, v7
	ds_read2_b64 v[33:36], v9 offset0:8 offset1:224
	ds_read_b64 v[41:42], v3
	ds_read_b64 v[43:44], v10
	ds_read2_b32 v[45:46], v11 offset1:1
	v_lshlrev_b64 v[39:40], 3, v[1:2]
	v_add_co_u32 v37, vcc_lo, s22, v37
	v_add_co_ci_u32_e32 v38, vcc_lo, s23, v38, vcc_lo
	s_waitcnt vmcnt(0) lgkmcnt(0)
	v_add_co_u32 v39, vcc_lo, s22, v39
	v_add_co_ci_u32_e32 v40, vcc_lo, s23, v40, vcc_lo
	s_barrier
	buffer_gl0_inv
	v_cmp_lt_u32_e32 vcc_lo, 0x287, v0
	v_mul_f32_e32 v1, v14, v26
	v_mul_f32_e32 v14, v14, v25
	;; [unrolled: 1-line block ×8, first 2 shown]
	v_fma_f32 v1, v13, v25, -v1
	v_fmac_f32_e32 v14, v13, v26
	v_fma_f32 v13, v15, v31, -v52
	v_fmac_f32_e32 v16, v15, v32
	v_mul_f32_e32 v15, v22, v30
	v_mul_f32_e32 v22, v22, v29
	;; [unrolled: 1-line block ×4, first 2 shown]
	v_fma_f32 v26, v17, v27, -v53
	v_fmac_f32_e32 v18, v17, v28
	v_fma_f32 v17, v19, v33, -v54
	v_fmac_f32_e32 v20, v19, v34
	;; [unrolled: 2-line block ×4, first 2 shown]
	v_add_f32_e32 v23, v1, v13
	v_add_f32_e32 v28, v14, v16
	v_add_f32_e32 v30, v26, v17
	v_sub_f32_e32 v31, v18, v20
	v_add_f32_e32 v32, v44, v18
	v_add_f32_e32 v18, v18, v20
	v_add_f32_e32 v34, v15, v19
	v_sub_f32_e32 v35, v22, v24
	;; [unrolled: 4-line block ×3, first 2 shown]
	v_add_f32_e32 v27, v42, v14
	v_sub_f32_e32 v1, v1, v13
	v_add_f32_e32 v29, v43, v26
	v_add_f32_e32 v33, v45, v15
	v_fma_f32 v41, -0.5, v23, v41
	v_fmac_f32_e32 v42, -0.5, v28
	v_sub_f32_e32 v26, v26, v17
	v_fma_f32 v43, -0.5, v30, v43
	v_fmac_f32_e32 v44, -0.5, v18
	v_sub_f32_e32 v52, v15, v19
	v_fma_f32 v45, -0.5, v34, v45
	v_fmac_f32_e32 v46, -0.5, v22
	v_add_f32_e32 v13, v21, v13
	v_add_f32_e32 v14, v27, v16
	;; [unrolled: 1-line block ×5, first 2 shown]
	v_fmamk_f32 v19, v25, 0x3f5db3d7, v41
	v_fmamk_f32 v20, v1, 0xbf5db3d7, v42
	v_fmac_f32_e32 v41, 0xbf5db3d7, v25
	v_fmac_f32_e32 v42, 0x3f5db3d7, v1
	v_fmamk_f32 v21, v31, 0x3f5db3d7, v43
	v_fmamk_f32 v22, v26, 0xbf5db3d7, v44
	v_fmac_f32_e32 v43, 0xbf5db3d7, v31
	v_fmac_f32_e32 v44, 0x3f5db3d7, v26
	v_add_f32_e32 v18, v36, v24
	v_fmamk_f32 v23, v35, 0x3f5db3d7, v45
	v_fmamk_f32 v24, v52, 0xbf5db3d7, v46
	v_fmac_f32_e32 v45, 0xbf5db3d7, v35
	v_fmac_f32_e32 v46, 0x3f5db3d7, v52
	ds_write2_b64 v48, v[13:14], v[19:20] offset1:216
	ds_write_b64 v48, v[41:42] offset:3456
	ds_write2_b64 v51, v[15:16], v[21:22] offset1:216
	ds_write_b64 v51, v[43:44] offset:3456
	ds_write2_b64 v7, v[17:18], v[23:24] offset1:216
	ds_write_b64 v7, v[45:46] offset:3456
	s_waitcnt lgkmcnt(0)
	s_barrier
	buffer_gl0_inv
	global_load_dwordx4 v[13:16], v[37:38], off offset:624
	v_lshlrev_b32_e32 v1, 3, v50
	s_clause 0x1
	global_load_dwordx4 v[17:20], v[39:40], off offset:624
	global_load_dwordx4 v[21:24], v1, s[22:23] offset:624
	v_or_b32_e32 v7, s17, v4
	v_cndmask_b32_e64 v1, 0, 0xf3, vcc_lo
	v_cmp_lt_u32_e32 vcc_lo, 0x1af, v0
	v_mad_u64_u32 v[25:26], null, s0, v7, 0
	v_add_nc_u32_e32 v1, v47, v1
	v_cndmask_b32_e64 v0, 0, 0xa2, vcc_lo
	v_mul_lo_u32 v1, v1, s2
	v_mov_b32_e32 v4, v26
	v_add_nc_u32_e32 v0, v0, v6
	v_mad_u64_u32 v[26:27], null, s1, v7, v[4:5]
	v_lshlrev_b64 v[6:7], 3, v[1:2]
	v_add_nc_u32_e32 v1, s8, v1
	s_lshl_b64 s[0:1], s[6:7], 3
	v_and_b32_e32 v4, 0xffff, v49
	s_add_u32 s3, s10, s0
	s_addc_u32 s6, s11, s1
	v_lshlrev_b64 v[27:28], 3, v[1:2]
	v_add_nc_u32_e32 v1, s8, v1
	v_lshlrev_b64 v[25:26], 3, v[25:26]
	s_lshl_b64 s[0:1], s[4:5], 3
	s_add_u32 s0, s3, s0
	v_lshlrev_b64 v[29:30], 3, v[1:2]
	v_mul_lo_u32 v1, v0, s2
	s_addc_u32 s1, s6, s1
	v_add_co_u32 v49, vcc_lo, s0, v25
	v_add_co_ci_u32_e32 v50, vcc_lo, s1, v26, vcc_lo
	v_mad_u32_u24 v0, 0xa2, v4, v5
	v_add_co_u32 v33, vcc_lo, v49, v6
	v_lshlrev_b64 v[4:5], 3, v[1:2]
	v_add_nc_u32_e32 v1, s8, v1
	v_add_co_ci_u32_e32 v34, vcc_lo, v50, v7, vcc_lo
	v_add_co_u32 v35, vcc_lo, v49, v27
	v_lshlrev_b64 v[6:7], 3, v[1:2]
	v_add_nc_u32_e32 v1, s8, v1
	v_add_co_ci_u32_e32 v36, vcc_lo, v50, v28, vcc_lo
	v_add_co_u32 v37, vcc_lo, v49, v29
	v_lshlrev_b64 v[25:26], 3, v[1:2]
	v_mul_lo_u32 v1, v0, s2
	v_add_co_ci_u32_e32 v38, vcc_lo, v50, v30, vcc_lo
	v_add_co_u32 v39, vcc_lo, v49, v4
	v_add_co_ci_u32_e32 v40, vcc_lo, v50, v5, vcc_lo
	v_add_co_u32 v41, vcc_lo, v49, v6
	v_add_co_ci_u32_e32 v42, vcc_lo, v50, v7, vcc_lo
	v_lshlrev_b64 v[43:44], 3, v[1:2]
	v_add_nc_u32_e32 v1, s8, v1
	v_add_co_u32 v45, vcc_lo, v49, v25
	ds_read2_b64 v[4:7], v12 offset0:8 offset1:224
	v_add_co_ci_u32_e32 v46, vcc_lo, v50, v26, vcc_lo
	ds_read2_b64 v[25:28], v8 offset0:24 offset1:240
	ds_read2_b64 v[29:32], v9 offset0:8 offset1:224
	v_lshlrev_b64 v[47:48], 3, v[1:2]
	v_add_nc_u32_e32 v1, s8, v1
	v_add_co_u32 v8, vcc_lo, v49, v43
	v_add_co_ci_u32_e32 v9, vcc_lo, v50, v44, vcc_lo
	v_add_co_u32 v43, vcc_lo, v49, v47
	v_lshlrev_b64 v[0:1], 3, v[1:2]
	v_add_co_ci_u32_e32 v44, vcc_lo, v50, v48, vcc_lo
	ds_read_b64 v[2:3], v3
	ds_read_b64 v[47:48], v10
	ds_read2_b32 v[10:11], v11 offset1:1
	v_add_co_u32 v0, vcc_lo, v49, v0
	v_add_co_ci_u32_e32 v1, vcc_lo, v50, v1, vcc_lo
	s_waitcnt vmcnt(2) lgkmcnt(5)
	v_mul_f32_e32 v12, v14, v5
	v_mul_f32_e32 v14, v14, v4
	s_waitcnt lgkmcnt(4)
	v_mul_f32_e32 v49, v16, v28
	v_mul_f32_e32 v16, v16, v27
	s_waitcnt vmcnt(1)
	v_mul_f32_e32 v50, v18, v7
	v_mul_f32_e32 v18, v18, v6
	s_waitcnt lgkmcnt(3)
	v_mul_f32_e32 v51, v20, v30
	v_mul_f32_e32 v20, v20, v29
	s_waitcnt vmcnt(0)
	v_mul_f32_e32 v52, v22, v26
	v_mul_f32_e32 v22, v22, v25
	;; [unrolled: 1-line block ×4, first 2 shown]
	v_fma_f32 v4, v13, v4, -v12
	v_fmac_f32_e32 v14, v13, v5
	v_fma_f32 v5, v15, v27, -v49
	v_fmac_f32_e32 v16, v15, v28
	;; [unrolled: 2-line block ×6, first 2 shown]
	v_add_f32_e32 v17, v4, v5
	v_sub_f32_e32 v19, v14, v16
	s_waitcnt lgkmcnt(2)
	v_add_f32_e32 v21, v3, v14
	v_add_f32_e32 v14, v14, v16
	;; [unrolled: 1-line block ×3, first 2 shown]
	v_sub_f32_e32 v27, v18, v20
	s_waitcnt lgkmcnt(1)
	v_add_f32_e32 v28, v48, v18
	v_add_f32_e32 v18, v18, v20
	;; [unrolled: 1-line block ×4, first 2 shown]
	v_sub_f32_e32 v32, v22, v24
	s_waitcnt lgkmcnt(0)
	v_add_f32_e32 v49, v11, v22
	v_add_f32_e32 v22, v22, v24
	v_sub_f32_e32 v23, v4, v5
	v_fma_f32 v2, -0.5, v17, v2
	v_fmac_f32_e32 v3, -0.5, v14
	v_add_f32_e32 v25, v47, v6
	v_sub_f32_e32 v29, v6, v7
	v_fma_f32 v47, -0.5, v26, v47
	v_fmac_f32_e32 v48, -0.5, v18
	v_add_f32_e32 v30, v10, v12
	v_sub_f32_e32 v50, v12, v13
	v_add_f32_e32 v4, v15, v5
	v_add_f32_e32 v5, v21, v16
	v_fma_f32 v10, -0.5, v31, v10
	v_fmac_f32_e32 v11, -0.5, v22
	v_fmamk_f32 v14, v19, 0x3f5db3d7, v2
	v_fmamk_f32 v15, v23, 0xbf5db3d7, v3
	v_fmac_f32_e32 v2, 0xbf5db3d7, v19
	v_fmac_f32_e32 v3, 0x3f5db3d7, v23
	v_add_f32_e32 v6, v25, v7
	v_add_f32_e32 v7, v28, v20
	v_fmamk_f32 v16, v27, 0x3f5db3d7, v47
	v_fmamk_f32 v17, v29, 0xbf5db3d7, v48
	v_add_f32_e32 v12, v30, v13
	v_add_f32_e32 v13, v49, v24
	v_fmac_f32_e32 v47, 0xbf5db3d7, v27
	v_fmac_f32_e32 v48, 0x3f5db3d7, v29
	v_fmamk_f32 v18, v32, 0x3f5db3d7, v10
	v_fmac_f32_e32 v10, 0xbf5db3d7, v32
	v_fmamk_f32 v19, v50, 0xbf5db3d7, v11
	v_fmac_f32_e32 v11, 0x3f5db3d7, v50
	global_store_dwordx2 v[33:34], v[4:5], off
	global_store_dwordx2 v[35:36], v[14:15], off
	;; [unrolled: 1-line block ×9, first 2 shown]
	s_endpgm
	.section	.rodata,"a",@progbits
	.p2align	6, 0x0
	.amdhsa_kernel fft_rtc_fwd_len243_factors_3_3_3_3_3_wgs_216_tpt_27_sp_op_CI_CI_sbrc_xy_z_aligned_dirReg
		.amdhsa_group_segment_fixed_size 0
		.amdhsa_private_segment_fixed_size 0
		.amdhsa_kernarg_size 104
		.amdhsa_user_sgpr_count 6
		.amdhsa_user_sgpr_private_segment_buffer 1
		.amdhsa_user_sgpr_dispatch_ptr 0
		.amdhsa_user_sgpr_queue_ptr 0
		.amdhsa_user_sgpr_kernarg_segment_ptr 1
		.amdhsa_user_sgpr_dispatch_id 0
		.amdhsa_user_sgpr_flat_scratch_init 0
		.amdhsa_user_sgpr_private_segment_size 0
		.amdhsa_wavefront_size32 1
		.amdhsa_uses_dynamic_stack 0
		.amdhsa_system_sgpr_private_segment_wavefront_offset 0
		.amdhsa_system_sgpr_workgroup_id_x 1
		.amdhsa_system_sgpr_workgroup_id_y 0
		.amdhsa_system_sgpr_workgroup_id_z 0
		.amdhsa_system_sgpr_workgroup_info 0
		.amdhsa_system_vgpr_workitem_id 0
		.amdhsa_next_free_vgpr 58
		.amdhsa_next_free_sgpr 32
		.amdhsa_reserve_vcc 1
		.amdhsa_reserve_flat_scratch 0
		.amdhsa_float_round_mode_32 0
		.amdhsa_float_round_mode_16_64 0
		.amdhsa_float_denorm_mode_32 3
		.amdhsa_float_denorm_mode_16_64 3
		.amdhsa_dx10_clamp 1
		.amdhsa_ieee_mode 1
		.amdhsa_fp16_overflow 0
		.amdhsa_workgroup_processor_mode 1
		.amdhsa_memory_ordered 1
		.amdhsa_forward_progress 0
		.amdhsa_shared_vgpr_count 0
		.amdhsa_exception_fp_ieee_invalid_op 0
		.amdhsa_exception_fp_denorm_src 0
		.amdhsa_exception_fp_ieee_div_zero 0
		.amdhsa_exception_fp_ieee_overflow 0
		.amdhsa_exception_fp_ieee_underflow 0
		.amdhsa_exception_fp_ieee_inexact 0
		.amdhsa_exception_int_div_zero 0
	.end_amdhsa_kernel
	.text
.Lfunc_end0:
	.size	fft_rtc_fwd_len243_factors_3_3_3_3_3_wgs_216_tpt_27_sp_op_CI_CI_sbrc_xy_z_aligned_dirReg, .Lfunc_end0-fft_rtc_fwd_len243_factors_3_3_3_3_3_wgs_216_tpt_27_sp_op_CI_CI_sbrc_xy_z_aligned_dirReg
                                        ; -- End function
	.section	.AMDGPU.csdata,"",@progbits
; Kernel info:
; codeLenInByte = 5792
; NumSgprs: 34
; NumVgprs: 58
; ScratchSize: 0
; MemoryBound: 0
; FloatMode: 240
; IeeeMode: 1
; LDSByteSize: 0 bytes/workgroup (compile time only)
; SGPRBlocks: 4
; VGPRBlocks: 7
; NumSGPRsForWavesPerEU: 34
; NumVGPRsForWavesPerEU: 58
; Occupancy: 16
; WaveLimiterHint : 1
; COMPUTE_PGM_RSRC2:SCRATCH_EN: 0
; COMPUTE_PGM_RSRC2:USER_SGPR: 6
; COMPUTE_PGM_RSRC2:TRAP_HANDLER: 0
; COMPUTE_PGM_RSRC2:TGID_X_EN: 1
; COMPUTE_PGM_RSRC2:TGID_Y_EN: 0
; COMPUTE_PGM_RSRC2:TGID_Z_EN: 0
; COMPUTE_PGM_RSRC2:TIDIG_COMP_CNT: 0
	.text
	.p2alignl 6, 3214868480
	.fill 48, 4, 3214868480
	.type	__hip_cuid_102e048efc57beb4,@object ; @__hip_cuid_102e048efc57beb4
	.section	.bss,"aw",@nobits
	.globl	__hip_cuid_102e048efc57beb4
__hip_cuid_102e048efc57beb4:
	.byte	0                               ; 0x0
	.size	__hip_cuid_102e048efc57beb4, 1

	.ident	"AMD clang version 19.0.0git (https://github.com/RadeonOpenCompute/llvm-project roc-6.4.0 25133 c7fe45cf4b819c5991fe208aaa96edf142730f1d)"
	.section	".note.GNU-stack","",@progbits
	.addrsig
	.addrsig_sym __hip_cuid_102e048efc57beb4
	.amdgpu_metadata
---
amdhsa.kernels:
  - .args:
      - .actual_access:  read_only
        .address_space:  global
        .offset:         0
        .size:           8
        .value_kind:     global_buffer
      - .offset:         8
        .size:           8
        .value_kind:     by_value
      - .actual_access:  read_only
        .address_space:  global
        .offset:         16
        .size:           8
        .value_kind:     global_buffer
      - .actual_access:  read_only
        .address_space:  global
        .offset:         24
        .size:           8
        .value_kind:     global_buffer
      - .actual_access:  read_only
        .address_space:  global
        .offset:         32
        .size:           8
        .value_kind:     global_buffer
      - .offset:         40
        .size:           8
        .value_kind:     by_value
      - .actual_access:  read_only
        .address_space:  global
        .offset:         48
        .size:           8
        .value_kind:     global_buffer
      - .actual_access:  read_only
        .address_space:  global
        .offset:         56
        .size:           8
        .value_kind:     global_buffer
      - .offset:         64
        .size:           4
        .value_kind:     by_value
      - .actual_access:  read_only
        .address_space:  global
        .offset:         72
        .size:           8
        .value_kind:     global_buffer
      - .actual_access:  read_only
        .address_space:  global
        .offset:         80
        .size:           8
        .value_kind:     global_buffer
      - .actual_access:  read_only
        .address_space:  global
        .offset:         88
        .size:           8
        .value_kind:     global_buffer
      - .actual_access:  write_only
        .address_space:  global
        .offset:         96
        .size:           8
        .value_kind:     global_buffer
    .group_segment_fixed_size: 0
    .kernarg_segment_align: 8
    .kernarg_segment_size: 104
    .language:       OpenCL C
    .language_version:
      - 2
      - 0
    .max_flat_workgroup_size: 216
    .name:           fft_rtc_fwd_len243_factors_3_3_3_3_3_wgs_216_tpt_27_sp_op_CI_CI_sbrc_xy_z_aligned_dirReg
    .private_segment_fixed_size: 0
    .sgpr_count:     34
    .sgpr_spill_count: 0
    .symbol:         fft_rtc_fwd_len243_factors_3_3_3_3_3_wgs_216_tpt_27_sp_op_CI_CI_sbrc_xy_z_aligned_dirReg.kd
    .uniform_work_group_size: 1
    .uses_dynamic_stack: false
    .vgpr_count:     58
    .vgpr_spill_count: 0
    .wavefront_size: 32
    .workgroup_processor_mode: 1
amdhsa.target:   amdgcn-amd-amdhsa--gfx1030
amdhsa.version:
  - 1
  - 2
...

	.end_amdgpu_metadata
